;; amdgpu-corpus repo=ROCm/rocFFT kind=compiled arch=gfx1201 opt=O3
	.text
	.amdgcn_target "amdgcn-amd-amdhsa--gfx1201"
	.amdhsa_code_object_version 6
	.protected	fft_rtc_back_len60_factors_6_10_wgs_160_tpt_10_dp_op_CI_CI_sbcc_twdbase5_3step_dirReg_intrinsicReadWrite ; -- Begin function fft_rtc_back_len60_factors_6_10_wgs_160_tpt_10_dp_op_CI_CI_sbcc_twdbase5_3step_dirReg_intrinsicReadWrite
	.globl	fft_rtc_back_len60_factors_6_10_wgs_160_tpt_10_dp_op_CI_CI_sbcc_twdbase5_3step_dirReg_intrinsicReadWrite
	.p2align	8
	.type	fft_rtc_back_len60_factors_6_10_wgs_160_tpt_10_dp_op_CI_CI_sbcc_twdbase5_3step_dirReg_intrinsicReadWrite,@function
fft_rtc_back_len60_factors_6_10_wgs_160_tpt_10_dp_op_CI_CI_sbcc_twdbase5_3step_dirReg_intrinsicReadWrite: ; @fft_rtc_back_len60_factors_6_10_wgs_160_tpt_10_dp_op_CI_CI_sbcc_twdbase5_3step_dirReg_intrinsicReadWrite
; %bb.0:
	s_clause 0x1
	s_load_b256 s[4:11], s[0:1], 0x8
	s_load_b64 s[28:29], s[0:1], 0x28
	v_cmp_gt_u32_e64 s2, 0x60, v0
	s_mov_b32 s34, ttmp9
	s_delay_alu instid0(VALU_DEP_1)
	s_and_saveexec_b32 s3, s2
	s_cbranch_execz .LBB0_2
; %bb.1:
	v_lshlrev_b32_e32 v5, 4, v0
	s_wait_kmcnt 0x0
	global_load_b128 v[1:4], v5, s[4:5]
	v_add3_u32 v5, 0, v5, 0x3c00
	s_wait_loadcnt 0x0
	ds_store_2addr_b64 v5, v[1:2], v[3:4] offset1:1
.LBB0_2:
	s_or_b32 exec_lo, exec_lo, s3
	s_wait_kmcnt 0x0
	s_load_b64 s[30:31], s[8:9], 0x8
	s_mov_b32 s35, 0
	s_mov_b64 s[24:25], 0
	s_wait_kmcnt 0x0
	s_add_nc_u64 s[4:5], s[30:31], -1
	s_delay_alu instid0(SALU_CYCLE_1) | instskip(NEXT) | instid1(SALU_CYCLE_1)
	s_lshr_b64 s[4:5], s[4:5], 4
	s_add_nc_u64 s[36:37], s[4:5], 1
	s_delay_alu instid0(SALU_CYCLE_1) | instskip(NEXT) | instid1(VALU_DEP_1)
	v_cmp_lt_u64_e64 s3, s[34:35], s[36:37]
	s_and_b32 vcc_lo, exec_lo, s3
	s_cbranch_vccnz .LBB0_4
; %bb.3:
	v_cvt_f32_u32_e32 v1, s36
	s_sub_co_i32 s4, 0, s36
	s_mov_b32 s25, s35
	s_delay_alu instid0(VALU_DEP_1) | instskip(NEXT) | instid1(TRANS32_DEP_1)
	v_rcp_iflag_f32_e32 v1, v1
	v_mul_f32_e32 v1, 0x4f7ffffe, v1
	s_delay_alu instid0(VALU_DEP_1) | instskip(NEXT) | instid1(VALU_DEP_1)
	v_cvt_u32_f32_e32 v1, v1
	v_readfirstlane_b32 s3, v1
	s_delay_alu instid0(VALU_DEP_1) | instskip(NEXT) | instid1(SALU_CYCLE_1)
	s_mul_i32 s4, s4, s3
	s_mul_hi_u32 s4, s3, s4
	s_delay_alu instid0(SALU_CYCLE_1) | instskip(NEXT) | instid1(SALU_CYCLE_1)
	s_add_co_i32 s3, s3, s4
	s_mul_hi_u32 s3, s34, s3
	s_delay_alu instid0(SALU_CYCLE_1) | instskip(SKIP_2) | instid1(SALU_CYCLE_1)
	s_mul_i32 s4, s3, s36
	s_add_co_i32 s5, s3, 1
	s_sub_co_i32 s4, s34, s4
	s_sub_co_i32 s12, s4, s36
	s_cmp_ge_u32 s4, s36
	s_cselect_b32 s3, s5, s3
	s_cselect_b32 s4, s12, s4
	s_add_co_i32 s5, s3, 1
	s_cmp_ge_u32 s4, s36
	s_cselect_b32 s24, s5, s3
.LBB0_4:
	s_load_b128 s[20:23], s[10:11], 0x0
	s_load_b128 s[16:19], s[28:29], 0x0
	s_clause 0x1
	s_load_b128 s[12:15], s[0:1], 0x60
	s_load_b64 s[26:27], s[0:1], 0x0
	v_cmp_lt_u64_e64 s3, s[6:7], 3
	s_mul_u64 s[0:1], s[24:25], s[36:37]
	s_delay_alu instid0(SALU_CYCLE_1) | instskip(NEXT) | instid1(SALU_CYCLE_1)
	s_sub_nc_u64 s[0:1], s[34:35], s[0:1]
	s_lshl_b64 s[38:39], s[0:1], 4
	s_delay_alu instid0(VALU_DEP_1)
	s_and_b32 vcc_lo, exec_lo, s3
	s_wait_kmcnt 0x0
	s_mul_u64 s[0:1], s[22:23], s[38:39]
	s_mul_u64 s[4:5], s[18:19], s[38:39]
	s_cbranch_vccnz .LBB0_14
; %bb.5:
	s_add_nc_u64 s[40:41], s[28:29], 16
	s_add_nc_u64 s[42:43], s[10:11], 16
	;; [unrolled: 1-line block ×3, first 2 shown]
	s_mov_b64 s[44:45], 2
	s_mov_b32 s46, 0
.LBB0_6:                                ; =>This Inner Loop Header: Depth=1
	s_load_b64 s[48:49], s[8:9], 0x0
                                        ; implicit-def: $sgpr52_sgpr53
	s_wait_kmcnt 0x0
	s_or_b64 s[50:51], s[24:25], s[48:49]
	s_delay_alu instid0(SALU_CYCLE_1)
	s_mov_b32 s47, s51
	s_mov_b32 s51, -1
	s_cmp_lg_u64 s[46:47], 0
	s_cbranch_scc0 .LBB0_8
; %bb.7:                                ;   in Loop: Header=BB0_6 Depth=1
	s_cvt_f32_u32 s3, s48
	s_cvt_f32_u32 s17, s49
	s_sub_nc_u64 s[54:55], 0, s[48:49]
	s_mov_b32 s51, 0
	s_mov_b32 s59, s46
	s_wait_alu 0xfffe
	s_fmamk_f32 s3, s17, 0x4f800000, s3
	s_wait_alu 0xfffe
	s_delay_alu instid0(SALU_CYCLE_2) | instskip(NEXT) | instid1(TRANS32_DEP_1)
	v_s_rcp_f32 s3, s3
	s_mul_f32 s3, s3, 0x5f7ffffc
	s_wait_alu 0xfffe
	s_delay_alu instid0(SALU_CYCLE_2) | instskip(NEXT) | instid1(SALU_CYCLE_3)
	s_mul_f32 s17, s3, 0x2f800000
	s_trunc_f32 s17, s17
	s_delay_alu instid0(SALU_CYCLE_3) | instskip(SKIP_2) | instid1(SALU_CYCLE_1)
	s_fmamk_f32 s3, s17, 0xcf800000, s3
	s_cvt_u32_f32 s53, s17
	s_wait_alu 0xfffe
	s_cvt_u32_f32 s52, s3
	s_wait_alu 0xfffe
	s_delay_alu instid0(SALU_CYCLE_2)
	s_mul_u64 s[56:57], s[54:55], s[52:53]
	s_wait_alu 0xfffe
	s_mul_hi_u32 s61, s52, s57
	s_mul_i32 s60, s52, s57
	s_mul_hi_u32 s50, s52, s56
	s_mul_i32 s17, s53, s56
	s_add_nc_u64 s[60:61], s[50:51], s[60:61]
	s_mul_hi_u32 s3, s53, s56
	s_mul_hi_u32 s19, s53, s57
	s_add_co_u32 s17, s60, s17
	s_wait_alu 0xfffe
	s_add_co_ci_u32 s58, s61, s3
	s_mul_i32 s56, s53, s57
	s_add_co_ci_u32 s57, s19, 0
	s_wait_alu 0xfffe
	s_add_nc_u64 s[56:57], s[58:59], s[56:57]
	s_wait_alu 0xfffe
	v_add_co_u32 v1, s3, s52, s56
	s_delay_alu instid0(VALU_DEP_1) | instskip(SKIP_1) | instid1(VALU_DEP_1)
	s_cmp_lg_u32 s3, 0
	s_add_co_ci_u32 s53, s53, s57
	v_readfirstlane_b32 s52, v1
	s_mov_b32 s57, s46
	s_wait_alu 0xfffe
	s_delay_alu instid0(VALU_DEP_1)
	s_mul_u64 s[54:55], s[54:55], s[52:53]
	s_wait_alu 0xfffe
	s_mul_hi_u32 s59, s52, s55
	s_mul_i32 s58, s52, s55
	s_mul_hi_u32 s50, s52, s54
	s_mul_i32 s17, s53, s54
	s_add_nc_u64 s[58:59], s[50:51], s[58:59]
	s_mul_hi_u32 s3, s53, s54
	s_mul_hi_u32 s19, s53, s55
	s_add_co_u32 s17, s58, s17
	s_wait_alu 0xfffe
	s_add_co_ci_u32 s56, s59, s3
	s_mul_i32 s54, s53, s55
	s_add_co_ci_u32 s55, s19, 0
	s_wait_alu 0xfffe
	s_add_nc_u64 s[54:55], s[56:57], s[54:55]
	s_wait_alu 0xfffe
	v_add_co_u32 v1, s3, v1, s54
	s_delay_alu instid0(VALU_DEP_1) | instskip(SKIP_1) | instid1(VALU_DEP_1)
	s_cmp_lg_u32 s3, 0
	s_add_co_ci_u32 s3, s53, s55
	v_readfirstlane_b32 s17, v1
	s_wait_alu 0xfffe
	s_mul_hi_u32 s53, s24, s3
	s_mul_i32 s52, s24, s3
	s_mul_hi_u32 s19, s25, s3
	s_mul_i32 s54, s25, s3
	;; [unrolled: 2-line block ×3, first 2 shown]
	s_wait_alu 0xfffe
	s_add_nc_u64 s[52:53], s[50:51], s[52:53]
	s_mul_hi_u32 s17, s25, s17
	s_wait_alu 0xfffe
	s_add_co_u32 s3, s52, s3
	s_add_co_ci_u32 s56, s53, s17
	s_add_co_ci_u32 s55, s19, 0
	s_wait_alu 0xfffe
	s_add_nc_u64 s[52:53], s[56:57], s[54:55]
	s_wait_alu 0xfffe
	s_mul_u64 s[54:55], s[48:49], s[52:53]
	s_add_nc_u64 s[56:57], s[52:53], 1
	s_wait_alu 0xfffe
	v_sub_co_u32 v1, s3, s24, s54
	s_sub_co_i32 s17, s25, s55
	s_cmp_lg_u32 s3, 0
	s_add_nc_u64 s[58:59], s[52:53], 2
	s_delay_alu instid0(VALU_DEP_1) | instskip(SKIP_2) | instid1(VALU_DEP_1)
	v_sub_co_u32 v2, s19, v1, s48
	s_sub_co_ci_u32 s17, s17, s49
	s_cmp_lg_u32 s19, 0
	v_readfirstlane_b32 s19, v2
	s_sub_co_ci_u32 s17, s17, 0
	s_delay_alu instid0(SALU_CYCLE_1) | instskip(SKIP_1) | instid1(VALU_DEP_1)
	s_cmp_ge_u32 s17, s49
	s_cselect_b32 s21, -1, 0
	s_cmp_ge_u32 s19, s48
	s_cselect_b32 s19, -1, 0
	s_cmp_eq_u32 s17, s49
	s_cselect_b32 s17, s19, s21
	s_delay_alu instid0(SALU_CYCLE_1)
	s_cmp_lg_u32 s17, 0
	s_cselect_b32 s17, s58, s56
	s_cselect_b32 s19, s59, s57
	s_cmp_lg_u32 s3, 0
	v_readfirstlane_b32 s3, v1
	s_sub_co_ci_u32 s21, s25, s55
	s_delay_alu instid0(SALU_CYCLE_1) | instskip(SKIP_1) | instid1(VALU_DEP_1)
	s_cmp_ge_u32 s21, s49
	s_cselect_b32 s33, -1, 0
	s_cmp_ge_u32 s3, s48
	s_cselect_b32 s3, -1, 0
	s_cmp_eq_u32 s21, s49
	s_wait_alu 0xfffe
	s_cselect_b32 s3, s3, s33
	s_wait_alu 0xfffe
	s_cmp_lg_u32 s3, 0
	s_cselect_b32 s53, s19, s53
	s_cselect_b32 s52, s17, s52
.LBB0_8:                                ;   in Loop: Header=BB0_6 Depth=1
	s_and_not1_b32 vcc_lo, exec_lo, s51
	s_cbranch_vccnz .LBB0_10
; %bb.9:                                ;   in Loop: Header=BB0_6 Depth=1
	v_cvt_f32_u32_e32 v1, s48
	s_sub_co_i32 s17, 0, s48
	s_mov_b32 s53, s46
	s_delay_alu instid0(VALU_DEP_1) | instskip(NEXT) | instid1(TRANS32_DEP_1)
	v_rcp_iflag_f32_e32 v1, v1
	v_mul_f32_e32 v1, 0x4f7ffffe, v1
	s_delay_alu instid0(VALU_DEP_1) | instskip(NEXT) | instid1(VALU_DEP_1)
	v_cvt_u32_f32_e32 v1, v1
	v_readfirstlane_b32 s3, v1
	s_delay_alu instid0(VALU_DEP_1) | instskip(NEXT) | instid1(SALU_CYCLE_1)
	s_mul_i32 s17, s17, s3
	s_mul_hi_u32 s17, s3, s17
	s_delay_alu instid0(SALU_CYCLE_1)
	s_add_co_i32 s3, s3, s17
	s_wait_alu 0xfffe
	s_mul_hi_u32 s3, s24, s3
	s_wait_alu 0xfffe
	s_mul_i32 s17, s3, s48
	s_add_co_i32 s19, s3, 1
	s_sub_co_i32 s17, s24, s17
	s_delay_alu instid0(SALU_CYCLE_1)
	s_sub_co_i32 s21, s17, s48
	s_cmp_ge_u32 s17, s48
	s_cselect_b32 s3, s19, s3
	s_cselect_b32 s17, s21, s17
	s_wait_alu 0xfffe
	s_add_co_i32 s19, s3, 1
	s_cmp_ge_u32 s17, s48
	s_cselect_b32 s52, s19, s3
.LBB0_10:                               ;   in Loop: Header=BB0_6 Depth=1
	s_load_b64 s[50:51], s[42:43], 0x0
	s_load_b64 s[54:55], s[40:41], 0x0
	s_add_nc_u64 s[44:45], s[44:45], 1
	s_mul_u64 s[36:37], s[48:49], s[36:37]
	s_wait_alu 0xfffe
	v_cmp_ge_u64_e64 s3, s[44:45], s[6:7]
	s_mul_u64 s[48:49], s[52:53], s[48:49]
	s_add_nc_u64 s[40:41], s[40:41], 8
	s_wait_alu 0xfffe
	s_sub_nc_u64 s[24:25], s[24:25], s[48:49]
	s_add_nc_u64 s[42:43], s[42:43], 8
	s_add_nc_u64 s[8:9], s[8:9], 8
	s_and_b32 vcc_lo, exec_lo, s3
	s_wait_kmcnt 0x0
	s_wait_alu 0xfffe
	s_mul_u64 s[48:49], s[50:51], s[24:25]
	s_mul_u64 s[24:25], s[54:55], s[24:25]
	s_wait_alu 0xfffe
	s_add_nc_u64 s[0:1], s[48:49], s[0:1]
	s_add_nc_u64 s[4:5], s[24:25], s[4:5]
	s_cbranch_vccnz .LBB0_12
; %bb.11:                               ;   in Loop: Header=BB0_6 Depth=1
	s_mov_b64 s[24:25], s[52:53]
	s_branch .LBB0_6
.LBB0_12:
	v_cmp_lt_u64_e64 s3, s[34:35], s[36:37]
	s_mov_b64 s[24:25], 0
	s_delay_alu instid0(VALU_DEP_1)
	s_and_b32 vcc_lo, exec_lo, s3
	s_cbranch_vccnz .LBB0_14
; %bb.13:
	v_cvt_f32_u32_e32 v1, s36
	s_sub_co_i32 s5, 0, s36
	s_mov_b32 s25, 0
	s_delay_alu instid0(VALU_DEP_1) | instskip(NEXT) | instid1(TRANS32_DEP_1)
	v_rcp_iflag_f32_e32 v1, v1
	v_mul_f32_e32 v1, 0x4f7ffffe, v1
	s_delay_alu instid0(VALU_DEP_1) | instskip(NEXT) | instid1(VALU_DEP_1)
	v_cvt_u32_f32_e32 v1, v1
	v_readfirstlane_b32 s3, v1
	s_delay_alu instid0(VALU_DEP_1) | instskip(NEXT) | instid1(SALU_CYCLE_1)
	s_mul_i32 s5, s5, s3
	s_mul_hi_u32 s5, s3, s5
	s_delay_alu instid0(SALU_CYCLE_1)
	s_add_co_i32 s3, s3, s5
	s_wait_alu 0xfffe
	s_mul_hi_u32 s3, s34, s3
	s_wait_alu 0xfffe
	s_mul_i32 s5, s3, s36
	s_add_co_i32 s8, s3, 1
	s_sub_co_i32 s5, s34, s5
	s_delay_alu instid0(SALU_CYCLE_1)
	s_sub_co_i32 s9, s5, s36
	s_cmp_ge_u32 s5, s36
	s_cselect_b32 s3, s8, s3
	s_cselect_b32 s5, s9, s5
	s_wait_alu 0xfffe
	s_add_co_i32 s8, s3, 1
	s_cmp_ge_u32 s5, s36
	s_cselect_b32 s24, s8, s3
.LBB0_14:
	s_lshl_b64 s[6:7], s[6:7], 3
	v_dual_mov_b32 v42, s39 :: v_dual_and_b32 v107, 15, v0
	s_wait_alu 0xfffe
	s_add_nc_u64 s[8:9], s[10:11], s[6:7]
	v_mov_b32_e32 v7, 0
	s_load_b64 s[8:9], s[8:9], 0x0
	v_mad_co_u64_u32 v[25:26], null, s22, v107, 0
	v_or_b32_e32 v41, s38, v107
	v_dual_mov_b32 v5, 0 :: v_dual_mov_b32 v8, 0
	s_add_nc_u64 s[10:11], s[38:39], 16
	v_mov_b32_e32 v3, v7
	v_cmp_le_u64_e64 s3, s[10:11], s[30:31]
	s_delay_alu instid0(VALU_DEP_3) | instskip(SKIP_2) | instid1(VALU_DEP_3)
	v_dual_mov_b32 v1, v26 :: v_dual_mov_b32 v4, v8
	v_cmp_gt_u64_e32 vcc_lo, s[30:31], v[41:42]
	v_lshrrev_b32_e32 v43, 4, v0
	v_mad_co_u64_u32 v[1:2], null, s23, v107, v[1:2]
	v_dual_mov_b32 v1, v7 :: v_dual_mov_b32 v2, v8
	s_wait_kmcnt 0x0
	s_mul_u64 s[8:9], s[8:9], s[24:25]
	s_delay_alu instid0(SALU_CYCLE_1) | instskip(SKIP_1) | instid1(SALU_CYCLE_1)
	s_add_nc_u64 s[8:9], s[8:9], s[0:1]
	s_or_b32 s1, s3, vcc_lo
	s_and_saveexec_b32 s5, s1
	s_cbranch_execz .LBB0_16
; %bb.15:
	v_mul_lo_u32 v1, s20, v43
	s_delay_alu instid0(VALU_DEP_1) | instskip(NEXT) | instid1(VALU_DEP_1)
	v_add3_u32 v4, s8, v25, v1
	v_lshlrev_b64_e32 v[1:2], 4, v[4:5]
	s_delay_alu instid0(VALU_DEP_1) | instskip(NEXT) | instid1(VALU_DEP_1)
	v_add_co_u32 v1, s0, s12, v1
	v_add_co_ci_u32_e64 v2, s0, s13, v2, s0
	global_load_b128 v[1:4], v[1:2], off
.LBB0_16:
	s_or_b32 exec_lo, exec_lo, s5
	v_dual_mov_b32 v5, v7 :: v_dual_mov_b32 v6, v8
	s_and_saveexec_b32 s5, s1
	s_cbranch_execz .LBB0_18
; %bb.17:
	v_dual_mov_b32 v6, 0 :: v_dual_add_nc_u32 v5, 10, v43
	s_delay_alu instid0(VALU_DEP_1) | instskip(NEXT) | instid1(VALU_DEP_1)
	v_mul_lo_u32 v5, s20, v5
	v_add3_u32 v5, s8, v25, v5
	s_delay_alu instid0(VALU_DEP_1) | instskip(NEXT) | instid1(VALU_DEP_1)
	v_lshlrev_b64_e32 v[5:6], 4, v[5:6]
	v_add_co_u32 v5, s0, s12, v5
	s_wait_alu 0xf1ff
	s_delay_alu instid0(VALU_DEP_2)
	v_add_co_ci_u32_e64 v6, s0, s13, v6, s0
	global_load_b128 v[5:8], v[5:6], off
.LBB0_18:
	s_or_b32 exec_lo, exec_lo, s5
	v_mov_b32_e32 v15, 0
	v_mov_b32_e32 v16, 0
	s_delay_alu instid0(VALU_DEP_2) | instskip(NEXT) | instid1(VALU_DEP_2)
	v_mov_b32_e32 v11, v15
	v_dual_mov_b32 v9, v15 :: v_dual_mov_b32 v10, v16
	v_mov_b32_e32 v12, v16
	s_and_saveexec_b32 s5, s1
	s_cbranch_execz .LBB0_20
; %bb.19:
	v_dual_mov_b32 v10, 0 :: v_dual_add_nc_u32 v9, 20, v43
	s_delay_alu instid0(VALU_DEP_1) | instskip(NEXT) | instid1(VALU_DEP_1)
	v_mul_lo_u32 v9, s20, v9
	v_add3_u32 v9, s8, v25, v9
	s_delay_alu instid0(VALU_DEP_1) | instskip(NEXT) | instid1(VALU_DEP_1)
	v_lshlrev_b64_e32 v[9:10], 4, v[9:10]
	v_add_co_u32 v9, s0, s12, v9
	s_wait_alu 0xf1ff
	s_delay_alu instid0(VALU_DEP_2)
	v_add_co_ci_u32_e64 v10, s0, s13, v10, s0
	global_load_b128 v[9:12], v[9:10], off
.LBB0_20:
	s_or_b32 exec_lo, exec_lo, s5
	v_dual_mov_b32 v13, v15 :: v_dual_mov_b32 v14, v16
	s_and_saveexec_b32 s5, s1
	s_cbranch_execz .LBB0_22
; %bb.21:
	v_dual_mov_b32 v14, 0 :: v_dual_add_nc_u32 v13, 30, v43
	s_delay_alu instid0(VALU_DEP_1) | instskip(NEXT) | instid1(VALU_DEP_1)
	v_mul_lo_u32 v13, s20, v13
	v_add3_u32 v13, s8, v25, v13
	s_delay_alu instid0(VALU_DEP_1) | instskip(NEXT) | instid1(VALU_DEP_1)
	v_lshlrev_b64_e32 v[13:14], 4, v[13:14]
	v_add_co_u32 v13, s0, s12, v13
	s_wait_alu 0xf1ff
	s_delay_alu instid0(VALU_DEP_2)
	v_add_co_ci_u32_e64 v14, s0, s13, v14, s0
	global_load_b128 v[13:16], v[13:14], off
.LBB0_22:
	s_or_b32 exec_lo, exec_lo, s5
	v_mov_b32_e32 v19, 0
	v_mov_b32_e32 v20, 0
	s_delay_alu instid0(VALU_DEP_1)
	v_dual_mov_b32 v24, v20 :: v_dual_mov_b32 v23, v19
	v_dual_mov_b32 v22, v20 :: v_dual_mov_b32 v21, v19
	s_and_saveexec_b32 s5, s1
	s_cbranch_execz .LBB0_24
; %bb.23:
	v_dual_mov_b32 v18, 0 :: v_dual_add_nc_u32 v17, 40, v43
	s_delay_alu instid0(VALU_DEP_1) | instskip(NEXT) | instid1(VALU_DEP_1)
	v_mul_lo_u32 v17, s20, v17
	v_add3_u32 v17, s8, v25, v17
	s_delay_alu instid0(VALU_DEP_1) | instskip(NEXT) | instid1(VALU_DEP_1)
	v_lshlrev_b64_e32 v[17:18], 4, v[17:18]
	v_add_co_u32 v17, s0, s12, v17
	s_wait_alu 0xf1ff
	s_delay_alu instid0(VALU_DEP_2)
	v_add_co_ci_u32_e64 v18, s0, s13, v18, s0
	global_load_b128 v[21:24], v[17:18], off
.LBB0_24:
	s_or_b32 exec_lo, exec_lo, s5
	v_dual_mov_b32 v17, v19 :: v_dual_mov_b32 v18, v20
	s_add_nc_u64 s[6:7], s[28:29], s[6:7]
	s_and_saveexec_b32 s5, s1
	s_cbranch_execz .LBB0_26
; %bb.25:
	v_dual_mov_b32 v18, 0 :: v_dual_add_nc_u32 v17, 50, v43
	s_delay_alu instid0(VALU_DEP_1) | instskip(NEXT) | instid1(VALU_DEP_1)
	v_mul_lo_u32 v17, s20, v17
	v_add3_u32 v17, s8, v25, v17
	s_delay_alu instid0(VALU_DEP_1) | instskip(NEXT) | instid1(VALU_DEP_1)
	v_lshlrev_b64_e32 v[17:18], 4, v[17:18]
	v_add_co_u32 v17, s0, s12, v17
	s_wait_alu 0xf1ff
	s_delay_alu instid0(VALU_DEP_2)
	v_add_co_ci_u32_e64 v18, s0, s13, v18, s0
	global_load_b128 v[17:20], v[17:18], off
.LBB0_26:
	s_or_b32 exec_lo, exec_lo, s5
	s_wait_loadcnt 0x0
	v_add_f64_e32 v[25:26], v[15:16], v[19:20]
	v_add_f64_e32 v[27:28], v[13:14], v[17:18]
	v_add_f64_e64 v[29:30], v[13:14], -v[17:18]
	v_add_f64_e64 v[31:32], v[15:16], -v[19:20]
	s_mov_b32 s0, 0xe8584caa
	s_mov_b32 s1, 0xbfebb67a
	;; [unrolled: 1-line block ×3, first 2 shown]
	s_wait_alu 0xfffe
	s_mov_b32 s8, s0
	v_add_f64_e32 v[33:34], v[9:10], v[21:22]
	v_add_f64_e32 v[35:36], v[11:12], v[23:24]
	;; [unrolled: 1-line block ×3, first 2 shown]
	v_add_f64_e64 v[44:45], v[11:12], -v[23:24]
	v_add_f64_e32 v[11:12], v[3:4], v[11:12]
	v_add_f64_e64 v[9:10], v[9:10], -v[21:22]
	s_load_b64 s[6:7], s[6:7], 0x0
	v_fma_f64 v[25:26], v[25:26], -0.5, v[7:8]
	v_fma_f64 v[27:28], v[27:28], -0.5, v[5:6]
	v_add_f64_e32 v[5:6], v[5:6], v[13:14]
	v_add_f64_e32 v[7:8], v[7:8], v[15:16]
	v_fma_f64 v[1:2], v[33:34], -0.5, v[1:2]
	v_fma_f64 v[3:4], v[35:36], -0.5, v[3:4]
	v_add_f64_e32 v[21:22], v[39:40], v[21:22]
                                        ; implicit-def: $vgpr35_vgpr36
                                        ; implicit-def: $vgpr39_vgpr40
	v_add_f64_e32 v[11:12], v[11:12], v[23:24]
	v_fma_f64 v[37:38], v[29:30], s[8:9], v[25:26]
	v_fma_f64 v[25:26], v[29:30], s[0:1], v[25:26]
	;; [unrolled: 1-line block ×4, first 2 shown]
	v_add_f64_e32 v[5:6], v[5:6], v[17:18]
	v_add_f64_e32 v[7:8], v[7:8], v[19:20]
	v_fma_f64 v[17:18], v[44:45], s[0:1], v[1:2]
	v_fma_f64 v[19:20], v[44:45], s[8:9], v[1:2]
	;; [unrolled: 1-line block ×4, first 2 shown]
	v_mul_f64_e32 v[15:16], s[0:1], v[37:38]
	v_mul_f64_e32 v[27:28], s[0:1], v[25:26]
	;; [unrolled: 1-line block ×3, first 2 shown]
	v_mul_f64_e32 v[25:26], -0.5, v[25:26]
	v_add_f64_e32 v[1:2], v[21:22], v[5:6]
	v_add_f64_e32 v[3:4], v[11:12], v[7:8]
	v_add_f64_e64 v[9:10], v[21:22], -v[5:6]
	v_add_f64_e64 v[11:12], v[11:12], -v[7:8]
	v_fma_f64 v[29:30], v[29:30], 0.5, v[15:16]
	v_fma_f64 v[27:28], v[13:14], -0.5, v[27:28]
	v_fma_f64 v[31:32], v[37:38], 0.5, v[31:32]
	v_fma_f64 v[25:26], v[13:14], s[8:9], v[25:26]
	s_delay_alu instid0(VALU_DEP_4) | instskip(NEXT) | instid1(VALU_DEP_4)
	v_add_f64_e32 v[5:6], v[17:18], v[29:30]
	v_add_f64_e32 v[13:14], v[19:20], v[27:28]
	s_delay_alu instid0(VALU_DEP_4) | instskip(NEXT) | instid1(VALU_DEP_4)
	v_add_f64_e32 v[7:8], v[23:24], v[31:32]
	v_add_f64_e32 v[15:16], v[33:34], v[25:26]
	v_add_f64_e64 v[17:18], v[17:18], -v[29:30]
	v_add_f64_e64 v[21:22], v[19:20], -v[27:28]
	;; [unrolled: 1-line block ×4, first 2 shown]
	v_mul_u32_u24_e32 v26, 0x60, v43
	v_lshlrev_b32_e32 v25, 4, v107
                                        ; implicit-def: $vgpr31_vgpr32
                                        ; implicit-def: $vgpr27_vgpr28
	s_delay_alu instid0(VALU_DEP_2) | instskip(NEXT) | instid1(VALU_DEP_1)
	v_lshlrev_b32_e32 v26, 4, v26
	v_add3_u32 v26, 0, v26, v25
	ds_store_b128 v26, v[1:4]
	ds_store_b128 v26, v[5:8] offset:256
	ds_store_b128 v26, v[13:16] offset:512
	;; [unrolled: 1-line block ×5, first 2 shown]
	global_wb scope:SCOPE_SE
	s_wait_dscnt 0x0
	s_wait_kmcnt 0x0
	s_barrier_signal -1
	s_barrier_wait -1
	global_inv scope:SCOPE_SE
	s_and_saveexec_b32 s0, s2
	s_cbranch_execz .LBB0_28
; %bb.27:
	v_and_b32_e32 v1, 0x70, v0
	s_delay_alu instid0(VALU_DEP_1) | instskip(NEXT) | instid1(VALU_DEP_1)
	v_lshlrev_b32_e32 v1, 4, v1
	v_add3_u32 v33, 0, v1, v25
	ds_load_b128 v[1:4], v33
	ds_load_b128 v[5:8], v33 offset:1536
	ds_load_b128 v[13:16], v33 offset:3072
	;; [unrolled: 1-line block ×9, first 2 shown]
.LBB0_28:
	s_wait_alu 0xfffe
	s_or_b32 exec_lo, exec_lo, s0
	v_cmp_gt_u32_e64 s1, 0x60, v0
	v_cmp_lt_u32_e64 s0, 0x5f, v0
	v_cndmask_b32_e64 v44, 0, 1, vcc_lo
	s_wait_alu 0xf1ff
	s_delay_alu instid0(VALU_DEP_3) | instskip(NEXT) | instid1(VALU_DEP_3)
	v_cndmask_b32_e64 v42, 0, 1, s1
	s_or_b32 vcc_lo, s0, s3
	s_mov_b32 s0, exec_lo
	s_wait_alu 0xfffe
	s_delay_alu instid0(VALU_DEP_1) | instskip(NEXT) | instid1(VALU_DEP_1)
	v_cndmask_b32_e32 v42, v44, v42, vcc_lo
	v_and_b32_e32 v42, 1, v42
	s_delay_alu instid0(VALU_DEP_1)
	v_cmpx_eq_u32_e32 1, v42
	s_cbranch_execz .LBB0_30
; %bb.29:
	v_mul_hi_u32 v42, 0x2aaaaaab, v43
	v_mul_lo_u32 v132, v41, -6
	s_add_co_i32 s0, 0, 0x3c00
	s_mov_b32 s20, 0x134454ff
	s_mov_b32 s21, 0xbfee6f0e
	;; [unrolled: 1-line block ×3, first 2 shown]
	s_wait_alu 0xfffe
	s_mov_b32 s2, s20
	s_mov_b32 s22, 0x4755a5e
	v_mul_u32_u24_e32 v42, 6, v42
	s_mov_b32 s23, 0xbfe2cf23
	s_mov_b32 s1, 0x3fe2cf23
	;; [unrolled: 1-line block ×4, first 2 shown]
	v_sub_nc_u32_e32 v108, v43, v42
	v_mul_hi_u32 v0, 0x2aaaaab, v0
	s_mov_b32 s9, 0xbfe9e377
	s_mov_b32 s8, 0x9b97f4a8
	;; [unrolled: 1-line block ×3, first 2 shown]
	v_mul_u32_u24_e32 v42, 9, v108
	v_mul_lo_u32 v142, v108, v41
	s_wait_alu 0xfffe
	s_mov_b32 s12, s10
	s_mul_i32 s5, s6, s24
	s_delay_alu instid0(SALU_CYCLE_1)
	s_add_co_i32 s4, s5, s4
	v_lshlrev_b32_e32 v109, 4, v42
	v_add_nc_u32_e32 v42, 54, v108
	s_clause 0x1
	global_load_b128 v[69:72], v109, s[26:27] offset:16
	global_load_b128 v[110:113], v109, s[26:27] offset:112
	v_mul_lo_u32 v41, v42, v41
	v_lshrrev_b32_e32 v42, 1, v142
	v_and_b32_e32 v43, 31, v142
	s_delay_alu instid0(VALU_DEP_2) | instskip(NEXT) | instid1(VALU_DEP_2)
	v_and_b32_e32 v42, 0x1f0, v42
	v_lshl_add_u32 v43, v43, 4, 0
	v_lshrrev_b32_e32 v44, 1, v41
	v_and_b32_e32 v46, 31, v41
	v_add_nc_u32_e32 v45, v41, v132
	v_add_nc_u32_e32 v42, s0, v42
	ds_load_b128 v[53:56], v43 offset:15360
	ds_load_b128 v[57:60], v42 offset:512
	v_and_b32_e32 v44, 0x1f0, v44
	v_lshl_add_u32 v46, v46, 4, 0
	v_lshrrev_b32_e32 v41, 6, v41
	v_lshrrev_b32_e32 v47, 1, v45
	v_and_b32_e32 v48, 31, v45
	v_add_nc_u32_e32 v42, s0, v44
	ds_load_b128 v[61:64], v42 offset:512
	ds_load_b128 v[65:68], v46 offset:15360
	v_add_nc_u32_e32 v49, v45, v132
	v_and_b32_e32 v41, 0x1f0, v41
	v_lshrrev_b32_e32 v45, 6, v45
	v_and_b32_e32 v43, 0x1f0, v47
	v_lshl_add_u32 v44, v48, 4, 0
	v_lshrrev_b32_e32 v47, 1, v49
	v_and_b32_e32 v48, 31, v49
	v_add_nc_u32_e32 v50, v49, v132
	v_add_nc_u32_e32 v41, s0, v41
	v_and_b32_e32 v42, 0x1f0, v45
	v_lshrrev_b32_e32 v45, 6, v49
	v_and_b32_e32 v46, 0x1f0, v47
	v_lshl_add_u32 v47, v48, 4, 0
	v_lshrrev_b32_e32 v48, 1, v50
	s_wait_dscnt 0x2
	v_mul_f64_e32 v[101:102], v[55:56], v[59:60]
	v_add_nc_u32_e32 v43, s0, v43
	ds_load_b128 v[114:117], v41 offset:1024
	v_add_nc_u32_e32 v41, s0, v42
	v_and_b32_e32 v85, 31, v50
	s_wait_dscnt 0x1
	v_mul_f64_e32 v[103:104], v[67:68], v[63:64]
	v_mul_f64_e32 v[63:64], v[65:66], v[63:64]
	v_add_nc_u32_e32 v89, v50, v132
	v_and_b32_e32 v42, 0x1f0, v45
	v_lshrrev_b32_e32 v45, 6, v50
	ds_load_b128 v[73:76], v44 offset:15360
	ds_load_b128 v[77:80], v43 offset:512
	;; [unrolled: 1-line block ×4, first 2 shown]
	v_and_b32_e32 v41, 0x1f0, v48
	v_add_nc_u32_e32 v43, s0, v46
	v_lshl_add_u32 v44, v85, 4, 0
	v_lshrrev_b32_e32 v46, 1, v89
	v_add_nc_u32_e32 v133, v89, v132
	v_add_nc_u32_e32 v41, s0, v41
	ds_load_b128 v[85:88], v43 offset:512
	v_and_b32_e32 v47, 31, v89
	v_lshrrev_b32_e32 v48, 6, v89
	ds_load_b128 v[89:92], v44 offset:15360
	ds_load_b128 v[93:96], v41 offset:512
	v_and_b32_e32 v46, 0x1f0, v46
	v_lshrrev_b32_e32 v118, 1, v133
	v_lshl_add_u32 v47, v47, 4, 0
	v_and_b32_e32 v119, 31, v133
	v_mul_f64_e32 v[59:60], v[53:54], v[59:60]
	v_add_nc_u32_e32 v120, s0, v46
	v_and_b32_e32 v118, 0x1f0, v118
	ds_load_b128 v[97:100], v47 offset:15360
	v_lshl_add_u32 v122, v119, 4, 0
	s_wait_dscnt 0x6
	v_mul_f64_e32 v[105:106], v[75:76], v[79:80]
	v_mul_f64_e32 v[79:80], v[73:74], v[79:80]
	v_add_nc_u32_e32 v126, s0, v118
	ds_load_b128 v[118:121], v120 offset:512
	v_and_b32_e32 v45, 0x1f0, v45
	v_add_nc_u32_e32 v42, s0, v42
	v_and_b32_e32 v143, 0x1f0, v48
	s_wait_dscnt 0x4
	v_mul_f64_e32 v[130:131], v[83:84], v[87:88]
	v_mul_f64_e32 v[87:88], v[81:82], v[87:88]
	v_fma_f64 v[134:135], v[53:54], v[57:58], -v[101:102]
	s_wait_dscnt 0x2
	v_mul_f64_e32 v[101:102], v[91:92], v[95:96]
	v_add_nc_u32_e32 v45, s0, v45
	v_fma_f64 v[138:139], v[65:66], v[61:62], -v[103:104]
	v_fma_f64 v[140:141], v[67:68], v[61:62], v[63:64]
	v_mul_f64_e32 v[61:62], v[89:90], v[95:96]
	ds_load_b128 v[41:44], v42 offset:1024
	ds_load_b128 v[45:48], v45 offset:1024
	ds_load_b128 v[122:125], v122 offset:15360
	ds_load_b128 v[126:129], v126 offset:512
	v_add_nc_u32_e32 v63, v133, v132
	v_lshrrev_b32_e32 v144, 6, v133
	v_add_nc_u32_e32 v54, s0, v143
	s_wait_dscnt 0x4
	v_mul_f64_e32 v[65:66], v[99:100], v[120:121]
	v_mul_f64_e32 v[67:68], v[97:98], v[120:121]
	v_lshrrev_b32_e32 v64, 1, v63
	v_add_nc_u32_e32 v133, v63, v132
	v_and_b32_e32 v53, 0x1f0, v144
	s_delay_alu instid0(VALU_DEP_3) | instskip(NEXT) | instid1(VALU_DEP_3)
	v_and_b32_e32 v64, 0x1f0, v64
	v_add_nc_u32_e32 v143, v133, v132
	v_fma_f64 v[136:137], v[57:58], v[55:56], v[59:60]
	s_delay_alu instid0(VALU_DEP_4) | instskip(NEXT) | instid1(VALU_DEP_4)
	v_add_nc_u32_e32 v57, s0, v53
	v_add_nc_u32_e32 v64, s0, v64
	ds_load_b128 v[53:56], v54 offset:1024
	ds_load_b128 v[57:60], v57 offset:1024
	v_fma_f64 v[103:104], v[73:74], v[77:78], -v[105:106]
	s_wait_dscnt 0x2
	v_mul_f64_e32 v[95:96], v[124:125], v[128:129]
	v_mul_f64_e32 v[105:106], v[122:123], v[128:129]
	v_and_b32_e32 v73, 31, v63
	v_lshrrev_b32_e32 v63, 6, v63
	v_fma_f64 v[79:80], v[75:76], v[77:78], v[79:80]
	v_fma_f64 v[77:78], v[81:82], v[85:86], -v[130:131]
	v_fma_f64 v[81:82], v[83:84], v[85:86], v[87:88]
	v_lshl_add_u32 v87, v73, 4, 0
	v_lshrrev_b32_e32 v88, 1, v133
	ds_load_b128 v[73:76], v64 offset:512
	v_fma_f64 v[83:84], v[89:90], v[93:94], -v[101:102]
	v_and_b32_e32 v102, 31, v143
	v_fma_f64 v[85:86], v[91:92], v[93:94], v[61:62]
	ds_load_b128 v[91:94], v87 offset:15360
	v_lshrrev_b32_e32 v62, 6, v133
	v_and_b32_e32 v61, 0x1f0, v63
	v_and_b32_e32 v63, 31, v133
	;; [unrolled: 1-line block ×3, first 2 shown]
	s_delay_alu instid0(VALU_DEP_4) | instskip(NEXT) | instid1(VALU_DEP_4)
	v_and_b32_e32 v87, 0x1f0, v62
	v_add_nc_u32_e32 v61, s0, v61
	s_delay_alu instid0(VALU_DEP_4) | instskip(NEXT) | instid1(VALU_DEP_4)
	v_lshl_add_u32 v89, v63, 4, 0
	v_add_nc_u32_e32 v90, s0, v64
	s_delay_alu instid0(VALU_DEP_4)
	v_add_nc_u32_e32 v101, s0, v87
	ds_load_b128 v[61:64], v61 offset:1024
	v_fma_f64 v[87:88], v[97:98], v[118:119], -v[65:66]
	v_fma_f64 v[97:98], v[99:100], v[118:119], v[67:68]
	ds_load_b128 v[118:121], v89 offset:15360
	ds_load_b128 v[128:131], v90 offset:512
	ds_load_b128 v[65:68], v101 offset:1024
	v_lshrrev_b32_e32 v101, 1, v143
	s_delay_alu instid0(VALU_DEP_1)
	v_and_b32_e32 v101, 0x1f0, v101
	v_fma_f64 v[89:90], v[122:123], v[126:127], -v[95:96]
	v_fma_f64 v[99:100], v[124:125], v[126:127], v[105:106]
	s_wait_dscnt 0x4
	v_mul_f64_e32 v[95:96], v[93:94], v[75:76]
	v_mul_f64_e32 v[75:76], v[91:92], v[75:76]
	v_lshl_add_u32 v122, v102, 4, 0
	s_wait_dscnt 0x1
	v_mul_f64_e32 v[105:106], v[120:121], v[130:131]
	v_mul_f64_e32 v[126:127], v[118:119], v[130:131]
	v_add_nc_u32_e32 v130, s0, v101
	ds_load_b128 v[122:125], v122 offset:15360
	ds_load_b128 v[130:133], v130 offset:512
	v_fma_f64 v[91:92], v[91:92], v[73:74], -v[95:96]
	v_fma_f64 v[101:102], v[93:94], v[73:74], v[75:76]
	s_wait_dscnt 0x0
	v_mul_f64_e32 v[95:96], v[124:125], v[132:133]
	v_lshrrev_b32_e32 v73, 6, v142
	v_lshrrev_b32_e32 v74, 6, v143
	v_fma_f64 v[93:94], v[118:119], v[128:129], -v[105:106]
	v_fma_f64 v[105:106], v[120:121], v[128:129], v[126:127]
	v_mul_f64_e32 v[126:127], v[122:123], v[132:133]
	v_and_b32_e32 v73, 0x1f0, v73
	v_and_b32_e32 v74, 0x1f0, v74
	s_delay_alu instid0(VALU_DEP_2) | instskip(NEXT) | instid1(VALU_DEP_2)
	v_add_nc_u32_e32 v73, s0, v73
	v_add_nc_u32_e32 v74, s0, v74
	ds_load_b128 v[118:121], v73 offset:1024
	ds_load_b128 v[73:76], v74 offset:1024
	s_mov_b32 s0, s22
	v_fma_f64 v[95:96], v[122:123], v[130:131], -v[95:96]
	v_fma_f64 v[126:127], v[124:125], v[130:131], v[126:127]
	global_load_b128 v[122:125], v109, s[26:27]
	s_wait_loadcnt 0x2
	v_mul_f64_e32 v[128:129], v[13:14], v[71:72]
	v_mul_f64_e32 v[71:72], v[15:16], v[71:72]
	s_delay_alu instid0(VALU_DEP_2) | instskip(NEXT) | instid1(VALU_DEP_2)
	v_fma_f64 v[128:129], v[15:16], v[69:70], -v[128:129]
	v_fma_f64 v[130:131], v[13:14], v[69:70], v[71:72]
	global_load_b128 v[13:16], v109, s[26:27] offset:96
	s_wait_loadcnt 0x2
	v_mul_f64_e32 v[69:70], v[37:38], v[112:113]
	v_mul_f64_e32 v[71:72], v[39:40], v[112:113]
	s_delay_alu instid0(VALU_DEP_2) | instskip(NEXT) | instid1(VALU_DEP_2)
	v_fma_f64 v[112:113], v[39:40], v[110:111], -v[69:70]
	v_fma_f64 v[110:111], v[37:38], v[110:111], v[71:72]
	s_clause 0x1
	global_load_b128 v[37:40], v109, s[26:27] offset:48
	global_load_b128 v[69:72], v109, s[26:27] offset:32
	s_wait_loadcnt 0x1
	v_mul_f64_e32 v[132:133], v[17:18], v[39:40]
	s_delay_alu instid0(VALU_DEP_1) | instskip(SKIP_1) | instid1(VALU_DEP_1)
	v_fma_f64 v[132:133], v[19:20], v[37:38], -v[132:133]
	v_mul_f64_e32 v[19:20], v[19:20], v[39:40]
	v_fma_f64 v[142:143], v[17:18], v[37:38], v[19:20]
	s_clause 0x1
	global_load_b128 v[17:20], v109, s[26:27] offset:80
	global_load_b128 v[37:40], v109, s[26:27] offset:64
	s_wait_loadcnt 0x1
	v_mul_f64_e32 v[144:145], v[25:26], v[19:20]
	v_mul_f64_e32 v[19:20], v[27:28], v[19:20]
	s_delay_alu instid0(VALU_DEP_2) | instskip(NEXT) | instid1(VALU_DEP_2)
	v_fma_f64 v[144:145], v[27:28], v[17:18], -v[144:145]
	v_fma_f64 v[17:18], v[25:26], v[17:18], v[19:20]
	s_wait_loadcnt 0x0
	v_mul_f64_e32 v[19:20], v[23:24], v[39:40]
	v_mul_f64_e32 v[27:28], v[11:12], v[71:72]
	s_delay_alu instid0(VALU_DEP_2) | instskip(SKIP_1) | instid1(VALU_DEP_3)
	v_fma_f64 v[19:20], v[21:22], v[37:38], v[19:20]
	v_mul_f64_e32 v[21:22], v[21:22], v[39:40]
	v_fma_f64 v[27:28], v[9:10], v[69:70], v[27:28]
	v_mul_f64_e32 v[39:40], v[5:6], v[124:125]
	s_delay_alu instid0(VALU_DEP_3)
	v_fma_f64 v[21:22], v[23:24], v[37:38], -v[21:22]
	v_mul_f64_e32 v[23:24], v[31:32], v[15:16]
	v_mul_f64_e32 v[15:16], v[29:30], v[15:16]
	;; [unrolled: 1-line block ×3, first 2 shown]
	v_fma_f64 v[7:8], v[7:8], v[122:123], -v[39:40]
	v_add_f64_e64 v[39:40], v[112:113], -v[144:145]
	v_add_f64_e32 v[124:125], v[3:4], v[128:129]
	v_fma_f64 v[23:24], v[29:30], v[13:14], v[23:24]
	v_fma_f64 v[25:26], v[31:32], v[13:14], -v[15:16]
	global_load_b128 v[13:16], v109, s[26:27] offset:128
	v_mul_f64_e32 v[29:30], v[9:10], v[71:72]
	s_wait_dscnt 0x1
	v_mul_f64_e32 v[31:32], v[120:121], v[134:135]
	v_add_f64_e32 v[71:72], v[128:129], v[112:113]
	v_fma_f64 v[5:6], v[5:6], v[122:123], v[37:38]
	v_add_f64_e64 v[37:38], v[128:129], -v[132:133]
	v_add_f64_e32 v[124:125], v[124:125], v[132:133]
	v_fma_f64 v[29:30], v[11:12], v[69:70], -v[29:30]
	v_add_f64_e32 v[69:70], v[142:143], v[17:18]
	s_delay_alu instid0(VALU_DEP_4) | instskip(SKIP_4) | instid1(VALU_DEP_1)
	v_add_f64_e32 v[37:38], v[37:38], v[39:40]
	v_add_f64_e64 v[39:40], v[132:133], -v[128:129]
	v_add_f64_e32 v[124:125], v[124:125], v[144:145]
	v_add_f64_e64 v[128:129], v[128:129], -v[112:113]
	v_fma_f64 v[69:70], v[69:70], -0.5, v[1:2]
	v_fma_f64 v[148:149], v[128:129], s[2:3], v[69:70]
	v_fma_f64 v[69:70], v[128:129], s[20:21], v[69:70]
	s_wait_loadcnt 0x0
	v_mul_f64_e32 v[9:10], v[35:36], v[15:16]
	v_mul_f64_e32 v[11:12], v[33:34], v[15:16]
	;; [unrolled: 1-line block ×3, first 2 shown]
	v_add_f64_e64 v[120:121], v[29:30], -v[21:22]
	s_delay_alu instid0(VALU_DEP_4) | instskip(NEXT) | instid1(VALU_DEP_4)
	v_fma_f64 v[33:34], v[33:34], v[13:14], v[9:10]
	v_fma_f64 v[13:14], v[35:36], v[13:14], -v[11:12]
	v_mul_f64_e32 v[9:10], v[140:141], v[116:117]
	v_mul_f64_e32 v[35:36], v[138:139], v[116:117]
	v_fma_f64 v[11:12], v[118:119], v[134:135], -v[15:16]
	v_fma_f64 v[15:16], v[118:119], v[136:137], v[31:32]
	v_add_f64_e32 v[31:32], v[132:133], v[144:145]
	v_add_f64_e32 v[116:117], v[130:131], v[110:111]
	;; [unrolled: 1-line block ×3, first 2 shown]
	v_add_f64_e64 v[136:137], v[17:18], -v[110:111]
	v_add_f64_e64 v[132:133], v[132:133], -v[144:145]
	;; [unrolled: 1-line block ×4, first 2 shown]
	v_fma_f64 v[9:10], v[114:115], v[138:139], -v[9:10]
	v_fma_f64 v[35:36], v[114:115], v[140:141], v[35:36]
	v_add_f64_e64 v[114:115], v[27:28], -v[19:20]
	v_add_f64_e32 v[138:139], v[29:30], v[13:14]
	v_fma_f64 v[31:32], v[31:32], -0.5, v[3:4]
	v_fma_f64 v[3:4], v[71:72], -0.5, v[3:4]
	;; [unrolled: 1-line block ×3, first 2 shown]
	v_add_f64_e64 v[71:72], v[130:131], -v[142:143]
	v_add_f64_e64 v[116:117], v[110:111], -v[17:18]
	v_add_f64_e32 v[140:141], v[27:28], v[33:34]
	v_fma_f64 v[69:70], v[132:133], s[22:23], v[69:70]
	v_add_f64_e32 v[120:121], v[120:121], v[122:123]
	v_add_f64_e64 v[122:123], v[19:20], -v[27:28]
	v_add_f64_e32 v[114:115], v[114:115], v[118:119]
	v_add_f64_e64 v[118:119], v[144:145], -v[112:113]
	v_fma_f64 v[138:139], v[138:139], -0.5, v[7:8]
	v_add_f64_e32 v[112:113], v[124:125], v[112:113]
	v_mov_b32_e32 v124, 0
	v_add_f64_e32 v[71:72], v[71:72], v[116:117]
	v_add_f64_e64 v[116:117], v[23:24], -v[33:34]
	v_fma_f64 v[140:141], v[140:141], -0.5, v[5:6]
	v_add_f64_e32 v[39:40], v[39:40], v[118:119]
	v_add_f64_e64 v[118:119], v[21:22], -v[29:30]
	v_fma_f64 v[69:70], v[71:72], s[10:11], v[69:70]
	v_add_f64_e32 v[116:117], v[122:123], v[116:117]
	v_add_f64_e64 v[122:123], v[25:26], -v[13:14]
	s_delay_alu instid0(VALU_DEP_1) | instskip(SKIP_1) | instid1(VALU_DEP_1)
	v_add_f64_e32 v[118:119], v[118:119], v[122:123]
	v_add_f64_e64 v[122:123], v[142:143], -v[130:131]
	v_add_f64_e32 v[122:123], v[122:123], v[136:137]
	v_add_f64_e32 v[136:137], v[21:22], v[25:26]
	s_delay_alu instid0(VALU_DEP_1) | instskip(SKIP_1) | instid1(VALU_DEP_1)
	v_fma_f64 v[136:137], v[136:137], -0.5, v[7:8]
	v_add_f64_e32 v[7:8], v[7:8], v[29:30]
	v_add_f64_e32 v[7:8], v[7:8], v[21:22]
	v_add_f64_e64 v[21:22], v[21:22], -v[25:26]
	s_delay_alu instid0(VALU_DEP_2) | instskip(SKIP_2) | instid1(VALU_DEP_3)
	v_add_f64_e32 v[7:8], v[7:8], v[25:26]
	v_add_f64_e32 v[25:26], v[134:135], v[142:143]
	v_add_f64_e64 v[134:135], v[142:143], -v[17:18]
	v_add_f64_e32 v[7:8], v[7:8], v[13:14]
	s_delay_alu instid0(VALU_DEP_3) | instskip(SKIP_1) | instid1(VALU_DEP_2)
	v_add_f64_e32 v[17:18], v[25:26], v[17:18]
	v_add_f64_e32 v[25:26], v[19:20], v[23:24]
	;; [unrolled: 1-line block ×3, first 2 shown]
	s_delay_alu instid0(VALU_DEP_2) | instskip(SKIP_2) | instid1(VALU_DEP_2)
	v_fma_f64 v[25:26], v[25:26], -0.5, v[5:6]
	v_add_f64_e32 v[5:6], v[5:6], v[27:28]
	v_add_f64_e64 v[27:28], v[27:28], -v[33:34]
	v_add_f64_e32 v[5:6], v[5:6], v[19:20]
	v_add_f64_e64 v[19:20], v[19:20], -v[23:24]
	s_delay_alu instid0(VALU_DEP_3) | instskip(SKIP_1) | instid1(VALU_DEP_4)
	v_fma_f64 v[146:147], v[27:28], s[20:21], v[136:137]
	v_fma_f64 v[136:137], v[27:28], s[2:3], v[136:137]
	v_add_f64_e32 v[5:6], v[5:6], v[23:24]
	v_add_f64_e64 v[23:24], v[130:131], -v[110:111]
	v_fma_f64 v[130:131], v[134:135], s[2:3], v[3:4]
	v_fma_f64 v[3:4], v[134:135], s[20:21], v[3:4]
	s_delay_alu instid0(VALU_DEP_4) | instskip(NEXT) | instid1(VALU_DEP_4)
	v_add_f64_e32 v[5:6], v[5:6], v[33:34]
	v_fma_f64 v[142:143], v[23:24], s[20:21], v[31:32]
	v_fma_f64 v[31:32], v[23:24], s[2:3], v[31:32]
	;; [unrolled: 1-line block ×3, first 2 shown]
	s_wait_alu 0xfffe
	v_fma_f64 v[3:4], v[23:24], s[0:1], v[3:4]
	v_add_f64_e64 v[23:24], v[29:30], -v[13:14]
	v_fma_f64 v[29:30], v[21:22], s[20:21], v[140:141]
	v_fma_f64 v[140:141], v[21:22], s[2:3], v[140:141]
	v_mul_f64_e32 v[13:14], v[87:88], v[55:56]
	v_mul_f64_e32 v[33:34], v[83:84], v[47:48]
	;; [unrolled: 1-line block ×3, first 2 shown]
	v_fma_f64 v[31:32], v[134:135], s[0:1], v[31:32]
	v_fma_f64 v[110:111], v[39:40], s[10:11], v[130:131]
	;; [unrolled: 1-line block ×9, first 2 shown]
	v_mul_f64_e32 v[39:40], v[89:90], v[59:60]
	v_fma_f64 v[13:14], v[53:54], v[97:98], v[13:14]
	v_fma_f64 v[33:34], v[45:46], v[85:86], v[33:34]
	;; [unrolled: 1-line block ×10, first 2 shown]
	s_delay_alu instid0(VALU_DEP_4) | instskip(NEXT) | instid1(VALU_DEP_4)
	v_fma_f64 v[27:28], v[118:119], s[10:11], v[27:28]
	v_fma_f64 v[138:139], v[128:129], s[0:1], v[138:139]
	s_delay_alu instid0(VALU_DEP_4)
	v_fma_f64 v[1:2], v[128:129], s[22:23], v[1:2]
	v_fma_f64 v[128:129], v[134:135], s[22:23], v[142:143]
	;; [unrolled: 1-line block ×7, first 2 shown]
	v_mad_u32_u24 v140, v0, 60, v108
	v_mul_lo_u32 v141, s18, v107
	s_delay_alu instid0(VALU_DEP_2) | instskip(NEXT) | instid1(VALU_DEP_1)
	v_add_nc_u32_e32 v125, 54, v140
	v_mul_lo_u32 v125, s16, v125
	v_mul_f64_e32 v[108:109], s[10:11], v[27:28]
	v_mul_f64_e32 v[27:28], s[20:21], v[27:28]
	v_fma_f64 v[130:131], v[122:123], s[10:11], v[138:139]
	v_fma_f64 v[128:129], v[37:38], s[10:11], v[128:129]
	;; [unrolled: 1-line block ×6, first 2 shown]
	v_mul_f64_e32 v[132:133], v[79:80], v[51:52]
	v_fma_f64 v[21:22], v[114:115], s[10:11], v[21:22]
	v_mul_f64_e32 v[114:115], s[20:21], v[136:137]
	v_mul_f64_e32 v[116:117], s[12:13], v[136:137]
	;; [unrolled: 1-line block ×3, first 2 shown]
	v_fma_f64 v[0:1], v[122:123], s[10:11], v[1:2]
	v_mul_f64_e32 v[138:139], v[91:92], v[63:64]
	v_mul_f64_e32 v[37:38], v[93:94], v[67:68]
	v_mul_lo_u32 v2, s16, v140
	v_add_nc_u32_e32 v122, 42, v140
	s_delay_alu instid0(VALU_DEP_2)
	v_add3_u32 v123, v141, v2, s4
	v_add_nc_u32_e32 v2, 48, v140
	v_fma_f64 v[107:108], v[23:24], s[2:3], v[108:109]
	v_fma_f64 v[23:24], v[23:24], s[10:11], v[27:28]
	v_add_nc_u32_e32 v109, 12, v140
	v_fma_f64 v[134:135], v[71:72], s[10:11], v[134:135]
	v_mul_f64_e32 v[120:121], s[22:23], v[25:26]
	v_mul_f64_e32 v[25:26], s[8:9], v[25:26]
	;; [unrolled: 1-line block ×3, first 2 shown]
	v_fma_f64 v[132:133], v[49:50], v[103:104], -v[132:133]
	v_mul_f64_e32 v[103:104], v[77:78], v[43:44]
	s_wait_dscnt 0x0
	v_mul_f64_e32 v[71:72], v[95:96], v[75:76]
	v_fma_f64 v[27:28], v[29:30], s[12:13], v[114:115]
	v_fma_f64 v[29:30], v[29:30], s[2:3], v[116:117]
	v_add_nc_u32_e32 v116, 24, v140
	v_add_nc_u32_e32 v117, 30, v140
	v_mul_f64_e32 v[43:44], v[81:82], v[43:44]
	v_fma_f64 v[37:38], v[65:66], v[105:106], v[37:38]
	s_delay_alu instid0(VALU_DEP_4) | instskip(NEXT) | instid1(VALU_DEP_4)
	v_mul_lo_u32 v142, s16, v116
	v_mul_lo_u32 v143, s16, v117
	v_fma_f64 v[120:121], v[118:119], s[8:9], v[120:121]
	s_mov_b32 s9, 0x3fe9e377
	v_fma_f64 v[25:26], v[118:119], s[0:1], v[25:26]
	s_wait_alu 0xfffe
	v_mul_f64_e32 v[19:20], s[8:9], v[19:20]
	v_fma_f64 v[114:115], v[21:22], s[8:9], v[136:137]
	v_add_nc_u32_e32 v118, 6, v140
	v_add_nc_u32_e32 v119, 18, v140
	v_fma_f64 v[71:72], v[73:74], v[126:127], v[71:72]
	v_add_f64_e32 v[116:117], v[110:111], v[29:30]
	v_mul_lo_u32 v137, s16, v109
	v_mul_lo_u32 v136, s16, v118
	v_add_f64_e64 v[85:86], v[128:129], -v[25:26]
	v_fma_f64 v[19:20], v[21:22], s[0:1], v[19:20]
	v_add_nc_u32_e32 v21, 36, v140
	v_mul_lo_u32 v140, s16, v119
	v_add_f64_e32 v[118:119], v[69:70], v[114:115]
	v_add_f64_e32 v[25:26], v[128:129], v[25:26]
	v_add_f64_e64 v[69:70], v[69:70], -v[114:115]
	v_mul_lo_u32 v144, s16, v21
	v_fma_f64 v[21:22], v[49:50], v[79:80], v[51:52]
	v_mul_f64_e32 v[49:50], v[97:98], v[55:56]
	v_fma_f64 v[51:52], v[41:42], v[81:82], v[103:104]
	v_add_f64_e64 v[79:80], v[17:18], -v[5:6]
	v_add_f64_e64 v[81:82], v[112:113], -v[7:8]
	v_add_f64_e32 v[17:18], v[17:18], v[5:6]
	v_add_f64_e32 v[5:6], v[112:113], v[7:8]
	v_mul_f64_e32 v[55:56], v[99:100], v[59:60]
	v_mul_f64_e32 v[59:60], v[101:102], v[63:64]
	;; [unrolled: 1-line block ×4, first 2 shown]
	v_add_f64_e64 v[97:98], v[134:135], -v[120:121]
	v_add_f64_e32 v[99:100], v[134:135], v[120:121]
	v_fma_f64 v[75:76], v[61:62], v[101:102], v[138:139]
	v_add_f64_e64 v[101:102], v[130:131], -v[27:28]
	v_add_f64_e32 v[105:106], v[130:131], v[27:28]
	v_add_f64_e64 v[27:28], v[3:4], -v[107:108]
	v_add_f64_e32 v[112:113], v[0:1], v[23:24]
	v_add_f64_e32 v[107:108], v[3:4], v[107:108]
	v_add_f64_e64 v[103:104], v[0:1], -v[23:24]
	v_add_f64_e64 v[23:24], v[110:111], -v[29:30]
	v_fma_f64 v[41:42], v[41:42], v[77:78], -v[43:44]
	v_fma_f64 v[43:44], v[45:46], v[83:84], -v[47:48]
	v_lshlrev_b64_e32 v[0:1], 4, v[123:124]
	v_add3_u32 v123, v141, v136, s4
	v_mul_lo_u32 v111, s16, v122
	v_mul_lo_u32 v122, s16, v2
	s_delay_alu instid0(VALU_DEP_3)
	v_lshlrev_b64_e32 v[2:3], 4, v[123:124]
	v_add3_u32 v123, v141, v137, s4
	v_add_f64_e32 v[120:121], v[31:32], v[19:20]
	v_add_f64_e64 v[109:110], v[31:32], -v[19:20]
	v_add_co_u32 v114, vcc_lo, s14, v0
	s_wait_alu 0xfffd
	v_add_co_ci_u32_e32 v115, vcc_lo, s15, v1, vcc_lo
	v_lshlrev_b64_e32 v[0:1], 4, v[123:124]
	v_add3_u32 v123, v141, v140, s4
	v_fma_f64 v[7:8], v[53:54], v[87:88], -v[49:50]
	v_add_co_u32 v83, vcc_lo, s14, v2
	v_mul_f64_e32 v[19:20], v[79:80], v[13:14]
	v_mul_f64_e32 v[13:14], v[81:82], v[13:14]
	;; [unrolled: 1-line block ×4, first 2 shown]
	v_fma_f64 v[45:46], v[57:58], v[89:90], -v[55:56]
	v_fma_f64 v[29:30], v[65:66], v[93:94], -v[63:64]
	;; [unrolled: 1-line block ×3, first 2 shown]
	v_mul_f64_e32 v[53:54], v[97:98], v[35:36]
	v_mul_f64_e32 v[35:36], v[85:86], v[35:36]
	;; [unrolled: 1-line block ×3, first 2 shown]
	v_fma_f64 v[47:48], v[61:62], v[91:92], -v[59:60]
	v_mul_f64_e32 v[55:56], v[101:102], v[21:22]
	v_mul_f64_e32 v[59:60], v[99:100], v[39:40]
	;; [unrolled: 1-line block ×11, first 2 shown]
	s_wait_alu 0xfffd
	v_add_co_ci_u32_e32 v84, vcc_lo, s15, v3, vcc_lo
	v_lshlrev_b64_e32 v[2:3], 4, v[123:124]
	v_add_co_u32 v87, vcc_lo, s14, v0
	v_mul_f64_e32 v[71:72], v[71:72], v[120:121]
	v_mul_f64_e32 v[77:78], v[109:110], v[33:34]
	s_wait_alu 0xfffd
	v_add_co_ci_u32_e32 v88, vcc_lo, s15, v1, vcc_lo
	v_add_co_u32 v91, vcc_lo, s14, v2
	v_add3_u32 v123, v141, v142, s4
	s_wait_alu 0xfffd
	v_add_co_ci_u32_e32 v92, vcc_lo, s15, v3, vcc_lo
	v_fma_f64 v[2:3], v[81:82], v[7:8], -v[19:20]
	v_fma_f64 v[0:1], v[79:80], v[7:8], v[13:14]
	v_fma_f64 v[6:7], v[5:6], v[11:12], -v[31:32]
	v_fma_f64 v[4:5], v[17:18], v[11:12], v[15:16]
	v_lshlrev_b64_e32 v[89:90], 4, v[123:124]
	v_add3_u32 v123, v141, v143, s4
	v_fma_f64 v[11:12], v[85:86], v[9:10], -v[53:54]
	v_fma_f64 v[9:10], v[97:98], v[9:10], v[35:36]
	v_fma_f64 v[35:36], v[49:50], v[120:121], -v[67:68]
	s_delay_alu instid0(VALU_DEP_4)
	v_lshlrev_b64_e32 v[93:94], 4, v[123:124]
	v_fma_f64 v[15:16], v[23:24], v[132:133], -v[55:56]
	v_fma_f64 v[23:24], v[25:26], v[45:46], -v[59:60]
	;; [unrolled: 1-line block ×3, first 2 shown]
	v_fma_f64 v[29:30], v[112:113], v[29:30], v[37:38]
	v_fma_f64 v[19:20], v[27:28], v[41:42], -v[57:58]
	v_fma_f64 v[27:28], v[116:117], v[47:48], -v[61:62]
	v_fma_f64 v[25:26], v[105:106], v[47:48], v[65:66]
	v_fma_f64 v[21:22], v[99:100], v[45:46], v[39:40]
	v_fma_f64 v[39:40], v[109:110], v[43:44], -v[75:76]
	v_fma_f64 v[17:18], v[103:104], v[41:42], v[51:52]
	v_fma_f64 v[13:14], v[101:102], v[132:133], v[73:74]
	v_add3_u32 v123, v141, v144, s4
	v_add_co_u32 v41, vcc_lo, s14, v89
	s_wait_alu 0xfffd
	v_add_co_ci_u32_e32 v42, vcc_lo, s15, v90, vcc_lo
	v_fma_f64 v[33:34], v[49:50], v[118:119], v[71:72]
	v_fma_f64 v[37:38], v[69:70], v[43:44], v[77:78]
	v_lshlrev_b64_e32 v[43:44], 4, v[123:124]
	v_add3_u32 v123, v141, v111, s4
	v_add_co_u32 v45, vcc_lo, s14, v93
	s_wait_alu 0xfffd
	v_add_co_ci_u32_e32 v46, vcc_lo, s15, v94, vcc_lo
	s_delay_alu instid0(VALU_DEP_3) | instskip(SKIP_4) | instid1(VALU_DEP_3)
	v_lshlrev_b64_e32 v[47:48], 4, v[123:124]
	v_add3_u32 v123, v141, v122, s4
	v_add_co_u32 v43, vcc_lo, s14, v43
	s_wait_alu 0xfffd
	v_add_co_ci_u32_e32 v44, vcc_lo, s15, v44, vcc_lo
	v_lshlrev_b64_e32 v[49:50], 4, v[123:124]
	v_add3_u32 v123, v141, v125, s4
	v_add_co_u32 v47, vcc_lo, s14, v47
	s_wait_alu 0xfffd
	v_add_co_ci_u32_e32 v48, vcc_lo, s15, v48, vcc_lo
	s_delay_alu instid0(VALU_DEP_3) | instskip(SKIP_3) | instid1(VALU_DEP_3)
	v_lshlrev_b64_e32 v[51:52], 4, v[123:124]
	v_add_co_u32 v49, vcc_lo, s14, v49
	s_wait_alu 0xfffd
	v_add_co_ci_u32_e32 v50, vcc_lo, s15, v50, vcc_lo
	v_add_co_u32 v51, vcc_lo, s14, v51
	s_wait_alu 0xfffd
	v_add_co_ci_u32_e32 v52, vcc_lo, s15, v52, vcc_lo
	s_clause 0x9
	global_store_b128 v[114:115], v[4:7], off
	global_store_b128 v[83:84], v[33:36], off
	;; [unrolled: 1-line block ×10, first 2 shown]
.LBB0_30:
	s_nop 0
	s_sendmsg sendmsg(MSG_DEALLOC_VGPRS)
	s_endpgm
	.section	.rodata,"a",@progbits
	.p2align	6, 0x0
	.amdhsa_kernel fft_rtc_back_len60_factors_6_10_wgs_160_tpt_10_dp_op_CI_CI_sbcc_twdbase5_3step_dirReg_intrinsicReadWrite
		.amdhsa_group_segment_fixed_size 0
		.amdhsa_private_segment_fixed_size 0
		.amdhsa_kernarg_size 112
		.amdhsa_user_sgpr_count 2
		.amdhsa_user_sgpr_dispatch_ptr 0
		.amdhsa_user_sgpr_queue_ptr 0
		.amdhsa_user_sgpr_kernarg_segment_ptr 1
		.amdhsa_user_sgpr_dispatch_id 0
		.amdhsa_user_sgpr_private_segment_size 0
		.amdhsa_wavefront_size32 1
		.amdhsa_uses_dynamic_stack 0
		.amdhsa_enable_private_segment 0
		.amdhsa_system_sgpr_workgroup_id_x 1
		.amdhsa_system_sgpr_workgroup_id_y 0
		.amdhsa_system_sgpr_workgroup_id_z 0
		.amdhsa_system_sgpr_workgroup_info 0
		.amdhsa_system_vgpr_workitem_id 0
		.amdhsa_next_free_vgpr 150
		.amdhsa_next_free_sgpr 62
		.amdhsa_reserve_vcc 1
		.amdhsa_float_round_mode_32 0
		.amdhsa_float_round_mode_16_64 0
		.amdhsa_float_denorm_mode_32 3
		.amdhsa_float_denorm_mode_16_64 3
		.amdhsa_fp16_overflow 0
		.amdhsa_workgroup_processor_mode 1
		.amdhsa_memory_ordered 1
		.amdhsa_forward_progress 0
		.amdhsa_round_robin_scheduling 0
		.amdhsa_exception_fp_ieee_invalid_op 0
		.amdhsa_exception_fp_denorm_src 0
		.amdhsa_exception_fp_ieee_div_zero 0
		.amdhsa_exception_fp_ieee_overflow 0
		.amdhsa_exception_fp_ieee_underflow 0
		.amdhsa_exception_fp_ieee_inexact 0
		.amdhsa_exception_int_div_zero 0
	.end_amdhsa_kernel
	.text
.Lfunc_end0:
	.size	fft_rtc_back_len60_factors_6_10_wgs_160_tpt_10_dp_op_CI_CI_sbcc_twdbase5_3step_dirReg_intrinsicReadWrite, .Lfunc_end0-fft_rtc_back_len60_factors_6_10_wgs_160_tpt_10_dp_op_CI_CI_sbcc_twdbase5_3step_dirReg_intrinsicReadWrite
                                        ; -- End function
	.section	.AMDGPU.csdata,"",@progbits
; Kernel info:
; codeLenInByte = 6396
; NumSgprs: 64
; NumVgprs: 150
; ScratchSize: 0
; MemoryBound: 0
; FloatMode: 240
; IeeeMode: 1
; LDSByteSize: 0 bytes/workgroup (compile time only)
; SGPRBlocks: 7
; VGPRBlocks: 18
; NumSGPRsForWavesPerEU: 64
; NumVGPRsForWavesPerEU: 150
; Occupancy: 9
; WaveLimiterHint : 1
; COMPUTE_PGM_RSRC2:SCRATCH_EN: 0
; COMPUTE_PGM_RSRC2:USER_SGPR: 2
; COMPUTE_PGM_RSRC2:TRAP_HANDLER: 0
; COMPUTE_PGM_RSRC2:TGID_X_EN: 1
; COMPUTE_PGM_RSRC2:TGID_Y_EN: 0
; COMPUTE_PGM_RSRC2:TGID_Z_EN: 0
; COMPUTE_PGM_RSRC2:TIDIG_COMP_CNT: 0
	.text
	.p2alignl 7, 3214868480
	.fill 96, 4, 3214868480
	.type	__hip_cuid_6b94b549ba82b2a5,@object ; @__hip_cuid_6b94b549ba82b2a5
	.section	.bss,"aw",@nobits
	.globl	__hip_cuid_6b94b549ba82b2a5
__hip_cuid_6b94b549ba82b2a5:
	.byte	0                               ; 0x0
	.size	__hip_cuid_6b94b549ba82b2a5, 1

	.ident	"AMD clang version 19.0.0git (https://github.com/RadeonOpenCompute/llvm-project roc-6.4.0 25133 c7fe45cf4b819c5991fe208aaa96edf142730f1d)"
	.section	".note.GNU-stack","",@progbits
	.addrsig
	.addrsig_sym __hip_cuid_6b94b549ba82b2a5
	.amdgpu_metadata
---
amdhsa.kernels:
  - .args:
      - .actual_access:  read_only
        .address_space:  global
        .offset:         0
        .size:           8
        .value_kind:     global_buffer
      - .address_space:  global
        .offset:         8
        .size:           8
        .value_kind:     global_buffer
      - .offset:         16
        .size:           8
        .value_kind:     by_value
      - .actual_access:  read_only
        .address_space:  global
        .offset:         24
        .size:           8
        .value_kind:     global_buffer
      - .actual_access:  read_only
        .address_space:  global
        .offset:         32
        .size:           8
        .value_kind:     global_buffer
      - .actual_access:  read_only
        .address_space:  global
        .offset:         40
        .size:           8
        .value_kind:     global_buffer
      - .offset:         48
        .size:           8
        .value_kind:     by_value
      - .actual_access:  read_only
        .address_space:  global
        .offset:         56
        .size:           8
        .value_kind:     global_buffer
      - .actual_access:  read_only
        .address_space:  global
        .offset:         64
        .size:           8
        .value_kind:     global_buffer
      - .offset:         72
        .size:           4
        .value_kind:     by_value
      - .actual_access:  read_only
        .address_space:  global
        .offset:         80
        .size:           8
        .value_kind:     global_buffer
      - .actual_access:  read_only
        .address_space:  global
        .offset:         88
        .size:           8
        .value_kind:     global_buffer
      - .actual_access:  read_only
        .address_space:  global
        .offset:         96
        .size:           8
        .value_kind:     global_buffer
      - .actual_access:  write_only
        .address_space:  global
        .offset:         104
        .size:           8
        .value_kind:     global_buffer
    .group_segment_fixed_size: 0
    .kernarg_segment_align: 8
    .kernarg_segment_size: 112
    .language:       OpenCL C
    .language_version:
      - 2
      - 0
    .max_flat_workgroup_size: 160
    .name:           fft_rtc_back_len60_factors_6_10_wgs_160_tpt_10_dp_op_CI_CI_sbcc_twdbase5_3step_dirReg_intrinsicReadWrite
    .private_segment_fixed_size: 0
    .sgpr_count:     64
    .sgpr_spill_count: 0
    .symbol:         fft_rtc_back_len60_factors_6_10_wgs_160_tpt_10_dp_op_CI_CI_sbcc_twdbase5_3step_dirReg_intrinsicReadWrite.kd
    .uniform_work_group_size: 1
    .uses_dynamic_stack: false
    .vgpr_count:     150
    .vgpr_spill_count: 0
    .wavefront_size: 32
    .workgroup_processor_mode: 1
amdhsa.target:   amdgcn-amd-amdhsa--gfx1201
amdhsa.version:
  - 1
  - 2
...

	.end_amdgpu_metadata
